;; amdgpu-corpus repo=ROCm/rocFFT kind=compiled arch=gfx1030 opt=O3
	.text
	.amdgcn_target "amdgcn-amd-amdhsa--gfx1030"
	.amdhsa_code_object_version 6
	.protected	fft_rtc_fwd_len252_factors_7_3_3_4_wgs_63_tpt_63_dp_ip_CI_unitstride_sbrr_C2R_dirReg ; -- Begin function fft_rtc_fwd_len252_factors_7_3_3_4_wgs_63_tpt_63_dp_ip_CI_unitstride_sbrr_C2R_dirReg
	.globl	fft_rtc_fwd_len252_factors_7_3_3_4_wgs_63_tpt_63_dp_ip_CI_unitstride_sbrr_C2R_dirReg
	.p2align	8
	.type	fft_rtc_fwd_len252_factors_7_3_3_4_wgs_63_tpt_63_dp_ip_CI_unitstride_sbrr_C2R_dirReg,@function
fft_rtc_fwd_len252_factors_7_3_3_4_wgs_63_tpt_63_dp_ip_CI_unitstride_sbrr_C2R_dirReg: ; @fft_rtc_fwd_len252_factors_7_3_3_4_wgs_63_tpt_63_dp_ip_CI_unitstride_sbrr_C2R_dirReg
; %bb.0:
	s_clause 0x2
	s_load_dwordx4 s[8:11], s[4:5], 0x0
	s_load_dwordx2 s[2:3], s[4:5], 0x50
	s_load_dwordx2 s[12:13], s[4:5], 0x18
	v_mul_u32_u24_e32 v1, 0x411, v0
	v_mov_b32_e32 v3, 0
	v_add_nc_u32_sdwa v5, s6, v1 dst_sel:DWORD dst_unused:UNUSED_PAD src0_sel:DWORD src1_sel:WORD_1
	v_mov_b32_e32 v1, 0
	v_mov_b32_e32 v6, v3
	v_mov_b32_e32 v2, 0
	s_waitcnt lgkmcnt(0)
	v_cmp_lt_u64_e64 s0, s[10:11], 2
	s_and_b32 vcc_lo, exec_lo, s0
	s_cbranch_vccnz .LBB0_8
; %bb.1:
	s_load_dwordx2 s[0:1], s[4:5], 0x10
	v_mov_b32_e32 v1, 0
	s_add_u32 s6, s12, 8
	v_mov_b32_e32 v2, 0
	s_addc_u32 s7, s13, 0
	s_mov_b64 s[16:17], 1
	s_waitcnt lgkmcnt(0)
	s_add_u32 s14, s0, 8
	s_addc_u32 s15, s1, 0
.LBB0_2:                                ; =>This Inner Loop Header: Depth=1
	s_load_dwordx2 s[18:19], s[14:15], 0x0
                                        ; implicit-def: $vgpr7_vgpr8
	s_mov_b32 s0, exec_lo
	s_waitcnt lgkmcnt(0)
	v_or_b32_e32 v4, s19, v6
	v_cmpx_ne_u64_e32 0, v[3:4]
	s_xor_b32 s1, exec_lo, s0
	s_cbranch_execz .LBB0_4
; %bb.3:                                ;   in Loop: Header=BB0_2 Depth=1
	v_cvt_f32_u32_e32 v4, s18
	v_cvt_f32_u32_e32 v7, s19
	s_sub_u32 s0, 0, s18
	s_subb_u32 s20, 0, s19
	v_fmac_f32_e32 v4, 0x4f800000, v7
	v_rcp_f32_e32 v4, v4
	v_mul_f32_e32 v4, 0x5f7ffffc, v4
	v_mul_f32_e32 v7, 0x2f800000, v4
	v_trunc_f32_e32 v7, v7
	v_fmac_f32_e32 v4, 0xcf800000, v7
	v_cvt_u32_f32_e32 v7, v7
	v_cvt_u32_f32_e32 v4, v4
	v_mul_lo_u32 v8, s0, v7
	v_mul_hi_u32 v9, s0, v4
	v_mul_lo_u32 v10, s20, v4
	v_add_nc_u32_e32 v8, v9, v8
	v_mul_lo_u32 v9, s0, v4
	v_add_nc_u32_e32 v8, v8, v10
	v_mul_hi_u32 v10, v4, v9
	v_mul_lo_u32 v11, v4, v8
	v_mul_hi_u32 v12, v4, v8
	v_mul_hi_u32 v13, v7, v9
	v_mul_lo_u32 v9, v7, v9
	v_mul_hi_u32 v14, v7, v8
	v_mul_lo_u32 v8, v7, v8
	v_add_co_u32 v10, vcc_lo, v10, v11
	v_add_co_ci_u32_e32 v11, vcc_lo, 0, v12, vcc_lo
	v_add_co_u32 v9, vcc_lo, v10, v9
	v_add_co_ci_u32_e32 v9, vcc_lo, v11, v13, vcc_lo
	v_add_co_ci_u32_e32 v10, vcc_lo, 0, v14, vcc_lo
	v_add_co_u32 v8, vcc_lo, v9, v8
	v_add_co_ci_u32_e32 v9, vcc_lo, 0, v10, vcc_lo
	v_add_co_u32 v4, vcc_lo, v4, v8
	v_add_co_ci_u32_e32 v7, vcc_lo, v7, v9, vcc_lo
	v_mul_hi_u32 v8, s0, v4
	v_mul_lo_u32 v10, s20, v4
	v_mul_lo_u32 v9, s0, v7
	v_add_nc_u32_e32 v8, v8, v9
	v_mul_lo_u32 v9, s0, v4
	v_add_nc_u32_e32 v8, v8, v10
	v_mul_hi_u32 v10, v4, v9
	v_mul_lo_u32 v11, v4, v8
	v_mul_hi_u32 v12, v4, v8
	v_mul_hi_u32 v13, v7, v9
	v_mul_lo_u32 v9, v7, v9
	v_mul_hi_u32 v14, v7, v8
	v_mul_lo_u32 v8, v7, v8
	v_add_co_u32 v10, vcc_lo, v10, v11
	v_add_co_ci_u32_e32 v11, vcc_lo, 0, v12, vcc_lo
	v_add_co_u32 v9, vcc_lo, v10, v9
	v_add_co_ci_u32_e32 v9, vcc_lo, v11, v13, vcc_lo
	v_add_co_ci_u32_e32 v10, vcc_lo, 0, v14, vcc_lo
	v_add_co_u32 v8, vcc_lo, v9, v8
	v_add_co_ci_u32_e32 v9, vcc_lo, 0, v10, vcc_lo
	v_add_co_u32 v4, vcc_lo, v4, v8
	v_add_co_ci_u32_e32 v11, vcc_lo, v7, v9, vcc_lo
	v_mul_hi_u32 v13, v5, v4
	v_mad_u64_u32 v[9:10], null, v6, v4, 0
	v_mad_u64_u32 v[7:8], null, v5, v11, 0
	;; [unrolled: 1-line block ×3, first 2 shown]
	v_add_co_u32 v4, vcc_lo, v13, v7
	v_add_co_ci_u32_e32 v7, vcc_lo, 0, v8, vcc_lo
	v_add_co_u32 v4, vcc_lo, v4, v9
	v_add_co_ci_u32_e32 v4, vcc_lo, v7, v10, vcc_lo
	v_add_co_ci_u32_e32 v7, vcc_lo, 0, v12, vcc_lo
	v_add_co_u32 v4, vcc_lo, v4, v11
	v_add_co_ci_u32_e32 v9, vcc_lo, 0, v7, vcc_lo
	v_mul_lo_u32 v10, s19, v4
	v_mad_u64_u32 v[7:8], null, s18, v4, 0
	v_mul_lo_u32 v11, s18, v9
	v_sub_co_u32 v7, vcc_lo, v5, v7
	v_add3_u32 v8, v8, v11, v10
	v_sub_nc_u32_e32 v10, v6, v8
	v_subrev_co_ci_u32_e64 v10, s0, s19, v10, vcc_lo
	v_add_co_u32 v11, s0, v4, 2
	v_add_co_ci_u32_e64 v12, s0, 0, v9, s0
	v_sub_co_u32 v13, s0, v7, s18
	v_sub_co_ci_u32_e32 v8, vcc_lo, v6, v8, vcc_lo
	v_subrev_co_ci_u32_e64 v10, s0, 0, v10, s0
	v_cmp_le_u32_e32 vcc_lo, s18, v13
	v_cmp_eq_u32_e64 s0, s19, v8
	v_cndmask_b32_e64 v13, 0, -1, vcc_lo
	v_cmp_le_u32_e32 vcc_lo, s19, v10
	v_cndmask_b32_e64 v14, 0, -1, vcc_lo
	v_cmp_le_u32_e32 vcc_lo, s18, v7
	;; [unrolled: 2-line block ×3, first 2 shown]
	v_cndmask_b32_e64 v15, 0, -1, vcc_lo
	v_cmp_eq_u32_e32 vcc_lo, s19, v10
	v_cndmask_b32_e64 v7, v15, v7, s0
	v_cndmask_b32_e32 v10, v14, v13, vcc_lo
	v_add_co_u32 v13, vcc_lo, v4, 1
	v_add_co_ci_u32_e32 v14, vcc_lo, 0, v9, vcc_lo
	v_cmp_ne_u32_e32 vcc_lo, 0, v10
	v_cndmask_b32_e32 v8, v14, v12, vcc_lo
	v_cndmask_b32_e32 v10, v13, v11, vcc_lo
	v_cmp_ne_u32_e32 vcc_lo, 0, v7
	v_cndmask_b32_e32 v8, v9, v8, vcc_lo
	v_cndmask_b32_e32 v7, v4, v10, vcc_lo
.LBB0_4:                                ;   in Loop: Header=BB0_2 Depth=1
	s_andn2_saveexec_b32 s0, s1
	s_cbranch_execz .LBB0_6
; %bb.5:                                ;   in Loop: Header=BB0_2 Depth=1
	v_cvt_f32_u32_e32 v4, s18
	s_sub_i32 s1, 0, s18
	v_rcp_iflag_f32_e32 v4, v4
	v_mul_f32_e32 v4, 0x4f7ffffe, v4
	v_cvt_u32_f32_e32 v4, v4
	v_mul_lo_u32 v7, s1, v4
	v_mul_hi_u32 v7, v4, v7
	v_add_nc_u32_e32 v4, v4, v7
	v_mul_hi_u32 v4, v5, v4
	v_mul_lo_u32 v7, v4, s18
	v_add_nc_u32_e32 v8, 1, v4
	v_sub_nc_u32_e32 v7, v5, v7
	v_subrev_nc_u32_e32 v9, s18, v7
	v_cmp_le_u32_e32 vcc_lo, s18, v7
	v_cndmask_b32_e32 v7, v7, v9, vcc_lo
	v_cndmask_b32_e32 v4, v4, v8, vcc_lo
	v_cmp_le_u32_e32 vcc_lo, s18, v7
	v_add_nc_u32_e32 v8, 1, v4
	v_cndmask_b32_e32 v7, v4, v8, vcc_lo
	v_mov_b32_e32 v8, v3
.LBB0_6:                                ;   in Loop: Header=BB0_2 Depth=1
	s_or_b32 exec_lo, exec_lo, s0
	s_load_dwordx2 s[0:1], s[6:7], 0x0
	v_mul_lo_u32 v4, v8, s18
	v_mul_lo_u32 v11, v7, s19
	v_mad_u64_u32 v[9:10], null, v7, s18, 0
	s_add_u32 s16, s16, 1
	s_addc_u32 s17, s17, 0
	s_add_u32 s6, s6, 8
	s_addc_u32 s7, s7, 0
	;; [unrolled: 2-line block ×3, first 2 shown]
	v_add3_u32 v4, v10, v11, v4
	v_sub_co_u32 v5, vcc_lo, v5, v9
	v_sub_co_ci_u32_e32 v4, vcc_lo, v6, v4, vcc_lo
	s_waitcnt lgkmcnt(0)
	v_mul_lo_u32 v6, s1, v5
	v_mul_lo_u32 v4, s0, v4
	v_mad_u64_u32 v[1:2], null, s0, v5, v[1:2]
	v_cmp_ge_u64_e64 s0, s[16:17], s[10:11]
	s_and_b32 vcc_lo, exec_lo, s0
	v_add3_u32 v2, v6, v2, v4
	s_cbranch_vccnz .LBB0_9
; %bb.7:                                ;   in Loop: Header=BB0_2 Depth=1
	v_mov_b32_e32 v5, v7
	v_mov_b32_e32 v6, v8
	s_branch .LBB0_2
.LBB0_8:
	v_mov_b32_e32 v8, v6
	v_mov_b32_e32 v7, v5
.LBB0_9:
	s_lshl_b64 s[0:1], s[10:11], 3
	v_mul_hi_u32 v5, 0x4104105, v0
	s_add_u32 s0, s12, s0
	s_addc_u32 s1, s13, s1
	s_load_dwordx2 s[0:1], s[0:1], 0x0
	s_load_dwordx2 s[4:5], s[4:5], 0x20
	s_waitcnt lgkmcnt(0)
	v_mul_lo_u32 v3, s0, v8
	v_mul_lo_u32 v4, s1, v7
	v_mad_u64_u32 v[1:2], null, s0, v7, v[1:2]
	v_cmp_gt_u64_e32 vcc_lo, s[4:5], v[7:8]
	v_add3_u32 v2, v4, v2, v3
	v_mul_u32_u24_e32 v3, 63, v5
	v_lshlrev_b64 v[26:27], 4, v[1:2]
	v_sub_nc_u32_e32 v24, v0, v3
	s_and_saveexec_b32 s1, vcc_lo
	s_cbranch_execz .LBB0_13
; %bb.10:
	v_mov_b32_e32 v25, 0
	v_add_co_u32 v0, s0, s2, v26
	v_add_co_ci_u32_e64 v1, s0, s3, v27, s0
	v_lshlrev_b64 v[2:3], 4, v[24:25]
	v_lshl_add_u32 v18, v24, 4, 0
	s_mov_b32 s4, exec_lo
	v_add_co_u32 v10, s0, v0, v2
	v_add_co_ci_u32_e64 v11, s0, v1, v3, s0
	v_add_co_u32 v14, s0, 0x800, v10
	v_add_co_ci_u32_e64 v15, s0, 0, v11, s0
	s_clause 0x3
	global_load_dwordx4 v[2:5], v[10:11], off
	global_load_dwordx4 v[6:9], v[10:11], off offset:1008
	global_load_dwordx4 v[10:13], v[10:11], off offset:2016
	;; [unrolled: 1-line block ×3, first 2 shown]
	s_waitcnt vmcnt(3)
	ds_write_b128 v18, v[2:5]
	s_waitcnt vmcnt(2)
	ds_write_b128 v18, v[6:9] offset:1008
	s_waitcnt vmcnt(1)
	ds_write_b128 v18, v[10:13] offset:2016
	;; [unrolled: 2-line block ×3, first 2 shown]
	v_cmpx_eq_u32_e32 62, v24
	s_cbranch_execz .LBB0_12
; %bb.11:
	v_add_co_u32 v0, s0, 0x800, v0
	v_add_co_ci_u32_e64 v1, s0, 0, v1, s0
	v_mov_b32_e32 v24, 62
	global_load_dwordx4 v[0:3], v[0:1], off offset:1984
	s_waitcnt vmcnt(0)
	ds_write_b128 v25, v[0:3] offset:4032
.LBB0_12:
	s_or_b32 exec_lo, exec_lo, s4
.LBB0_13:
	s_or_b32 exec_lo, exec_lo, s1
	v_lshlrev_b32_e32 v0, 4, v24
	s_waitcnt lgkmcnt(0)
	s_barrier
	buffer_gl0_inv
	s_add_u32 s1, s8, 0xf50
	v_add_nc_u32_e32 v52, 0, v0
	v_sub_nc_u32_e32 v10, 0, v0
	s_addc_u32 s4, s9, 0
	s_mov_b32 s5, exec_lo
                                        ; implicit-def: $vgpr4_vgpr5
	ds_read_b64 v[6:7], v52
	ds_read_b64 v[8:9], v10 offset:4032
	s_waitcnt lgkmcnt(0)
	v_add_f64 v[0:1], v[6:7], v[8:9]
	v_add_f64 v[2:3], v[6:7], -v[8:9]
	v_cmpx_ne_u32_e32 0, v24
	s_xor_b32 s5, exec_lo, s5
	s_cbranch_execz .LBB0_15
; %bb.14:
	v_mov_b32_e32 v25, 0
	v_add_f64 v[13:14], v[6:7], v[8:9]
	v_add_f64 v[15:16], v[6:7], -v[8:9]
	v_lshlrev_b64 v[0:1], 4, v[24:25]
	v_add_co_u32 v0, s0, s1, v0
	v_add_co_ci_u32_e64 v1, s0, s4, v1, s0
	global_load_dwordx4 v[2:5], v[0:1], off
	ds_read_b64 v[0:1], v10 offset:4040
	ds_read_b64 v[11:12], v52 offset:8
	s_waitcnt lgkmcnt(0)
	v_add_f64 v[6:7], v[0:1], v[11:12]
	v_add_f64 v[0:1], v[11:12], -v[0:1]
	s_waitcnt vmcnt(0)
	v_fma_f64 v[8:9], v[15:16], v[4:5], v[13:14]
	v_fma_f64 v[11:12], -v[15:16], v[4:5], v[13:14]
	v_fma_f64 v[13:14], v[6:7], v[4:5], -v[0:1]
	v_fma_f64 v[4:5], v[6:7], v[4:5], v[0:1]
	v_fma_f64 v[0:1], -v[6:7], v[2:3], v[8:9]
	v_fma_f64 v[6:7], v[6:7], v[2:3], v[11:12]
	v_fma_f64 v[8:9], v[15:16], v[2:3], v[13:14]
	;; [unrolled: 1-line block ×3, first 2 shown]
	v_mov_b32_e32 v4, v24
	v_mov_b32_e32 v5, v25
	ds_write_b128 v10, v[6:9] offset:4032
.LBB0_15:
	s_andn2_saveexec_b32 s0, s5
	s_cbranch_execz .LBB0_17
; %bb.16:
	v_mov_b32_e32 v8, 0
	ds_read_b128 v[4:7], v8 offset:2016
	s_waitcnt lgkmcnt(0)
	v_add_f64 v[11:12], v[4:5], v[4:5]
	v_mul_f64 v[13:14], v[6:7], -2.0
	v_mov_b32_e32 v4, 0
	v_mov_b32_e32 v5, 0
	ds_write_b128 v8, v[11:14] offset:2016
.LBB0_17:
	s_or_b32 exec_lo, exec_lo, s0
	v_lshlrev_b64 v[4:5], 4, v[4:5]
	ds_write_b128 v52, v[0:3]
	s_mov_b32 s6, 0xe976ee23
	s_mov_b32 s10, 0x429ad128
	;; [unrolled: 1-line block ×4, first 2 shown]
	v_add_co_u32 v4, s0, s1, v4
	v_add_co_ci_u32_e64 v5, s0, s4, v5, s0
	s_mov_b32 s4, 0x36b3c0b5
	s_mov_b32 s5, 0x3fac98ee
	;; [unrolled: 1-line block ×3, first 2 shown]
	global_load_dwordx4 v[4:7], v[4:5], off offset:1008
	ds_read_b128 v[0:3], v52 offset:1008
	ds_read_b128 v[11:14], v10 offset:3024
	s_mov_b32 s1, 0x3fe948f6
	s_waitcnt lgkmcnt(0)
	v_add_f64 v[8:9], v[0:1], v[11:12]
	v_add_f64 v[15:16], v[13:14], v[2:3]
	v_add_f64 v[11:12], v[0:1], -v[11:12]
	v_add_f64 v[0:1], v[2:3], -v[13:14]
	s_waitcnt vmcnt(0)
	v_fma_f64 v[2:3], v[11:12], v[6:7], v[8:9]
	v_fma_f64 v[13:14], v[15:16], v[6:7], v[0:1]
	v_fma_f64 v[8:9], -v[11:12], v[6:7], v[8:9]
	v_fma_f64 v[17:18], v[15:16], v[6:7], -v[0:1]
	v_fma_f64 v[0:1], -v[15:16], v[4:5], v[2:3]
	v_fma_f64 v[2:3], v[11:12], v[4:5], v[13:14]
	v_fma_f64 v[6:7], v[15:16], v[4:5], v[8:9]
	v_fma_f64 v[8:9], v[11:12], v[4:5], v[17:18]
	ds_write_b128 v52, v[0:3] offset:1008
	ds_write_b128 v10, v[6:9] offset:3024
	s_waitcnt lgkmcnt(0)
	s_barrier
	buffer_gl0_inv
	s_barrier
	buffer_gl0_inv
	ds_read_b128 v[0:3], v52 offset:576
	ds_read_b128 v[4:7], v52 offset:3456
	;; [unrolled: 1-line block ×6, first 2 shown]
	s_waitcnt lgkmcnt(4)
	v_add_f64 v[28:29], v[0:1], v[4:5]
	v_add_f64 v[30:31], v[2:3], v[6:7]
	s_waitcnt lgkmcnt(2)
	v_add_f64 v[32:33], v[12:13], v[8:9]
	v_add_f64 v[34:35], v[14:15], v[10:11]
	;; [unrolled: 3-line block ×3, first 2 shown]
	v_add_f64 v[8:9], v[12:13], -v[8:9]
	v_add_f64 v[10:11], v[14:15], -v[10:11]
	;; [unrolled: 1-line block ×6, first 2 shown]
	ds_read_b128 v[0:3], v52
	s_waitcnt lgkmcnt(0)
	s_barrier
	buffer_gl0_inv
	v_add_f64 v[16:17], v[32:33], v[28:29]
	v_add_f64 v[18:19], v[34:35], v[30:31]
	v_add_f64 v[20:21], v[36:37], -v[32:33]
	v_add_f64 v[22:23], v[38:39], -v[34:35]
	;; [unrolled: 1-line block ×8, first 2 shown]
	v_add_f64 v[8:9], v[12:13], v[8:9]
	v_add_f64 v[10:11], v[14:15], v[10:11]
	v_add_f64 v[32:33], v[6:7], -v[14:15]
	v_add_f64 v[44:45], v[36:37], v[16:17]
	v_add_f64 v[46:47], v[38:39], v[18:19]
	v_add_f64 v[36:37], v[28:29], -v[36:37]
	v_add_f64 v[38:39], v[30:31], -v[38:39]
	v_mul_f64 v[16:17], v[20:21], s[4:5]
	v_mul_f64 v[20:21], v[22:23], s[4:5]
	v_add_f64 v[28:29], v[4:5], -v[12:13]
	v_mul_f64 v[22:23], v[40:41], s[6:7]
	v_mul_f64 v[18:19], v[42:43], s[6:7]
	s_mov_b32 s7, 0x3fe77f67
	s_mov_b32 s6, 0x5476071b
	;; [unrolled: 1-line block ×4, first 2 shown]
	v_add_f64 v[40:41], v[8:9], v[4:5]
	v_add_f64 v[42:43], v[10:11], v[6:7]
	;; [unrolled: 1-line block ×4, first 2 shown]
	v_mul_f64 v[0:1], v[48:49], s[10:11]
	v_mul_f64 v[2:3], v[50:51], s[10:11]
	;; [unrolled: 1-line block ×4, first 2 shown]
	s_mov_b32 s0, 0xaaaaaaaa
	s_mov_b32 s1, 0xbff2aaaa
	v_fma_f64 v[4:5], v[53:54], s[6:7], -v[16:17]
	v_fma_f64 v[6:7], v[55:56], s[6:7], -v[20:21]
	s_mov_b32 s7, 0xbfe77f67
	v_fma_f64 v[8:9], v[48:49], s[10:11], -v[22:23]
	v_fma_f64 v[10:11], v[50:51], s[10:11], -v[18:19]
	v_fma_f64 v[36:37], v[44:45], s[0:1], v[12:13]
	v_fma_f64 v[38:39], v[46:47], s[0:1], v[14:15]
	v_fma_f64 v[0:1], v[28:29], s[4:5], -v[0:1]
	v_fma_f64 v[2:3], v[32:33], s[4:5], -v[2:3]
	;; [unrolled: 1-line block ×4, first 2 shown]
	s_mov_b32 s6, 0x37c3f68c
	s_mov_b32 s7, 0x3fdc38aa
	s_mov_b32 s1, exec_lo
	v_fma_f64 v[8:9], v[40:41], s[6:7], v[8:9]
	v_fma_f64 v[10:11], v[42:43], s[6:7], v[10:11]
	v_add_f64 v[4:5], v[4:5], v[36:37]
	v_add_f64 v[6:7], v[6:7], v[38:39]
	v_fma_f64 v[48:49], v[40:41], s[6:7], v[0:1]
	v_fma_f64 v[44:45], v[42:43], s[6:7], v[2:3]
	v_add_f64 v[46:47], v[46:47], v[36:37]
	v_add_f64 v[50:51], v[50:51], v[38:39]
	v_add_f64 v[0:1], v[4:5], -v[10:11]
	v_add_f64 v[2:3], v[8:9], v[6:7]
	v_add_f64 v[4:5], v[4:5], v[10:11]
	v_add_f64 v[6:7], v[6:7], -v[8:9]
	v_add_f64 v[8:9], v[46:47], -v[44:45]
	v_add_f64 v[10:11], v[48:49], v[50:51]
	v_cmpx_gt_u32_e32 36, v24
	s_cbranch_execz .LBB0_19
; %bb.18:
	s_mov_b32 s5, 0x3fd5d0dc
	v_mul_f64 v[40:41], v[40:41], s[6:7]
	v_mul_f64 v[28:29], v[28:29], s[4:5]
	;; [unrolled: 1-line block ×4, first 2 shown]
	v_add_f64 v[20:21], v[20:21], v[34:35]
	v_add_f64 v[16:17], v[16:17], v[30:31]
	v_mad_u32_u24 v25, 0x60, v24, v52
	v_add_f64 v[22:23], v[22:23], v[28:29]
	v_add_f64 v[18:19], v[18:19], v[32:33]
	v_add_f64 v[20:21], v[20:21], v[38:39]
	v_add_f64 v[32:33], v[16:17], v[36:37]
	v_add_f64 v[16:17], v[46:47], v[44:45]
	v_add_f64 v[28:29], v[40:41], v[22:23]
	v_add_f64 v[34:35], v[42:43], v[18:19]
	v_add_f64 v[18:19], v[50:51], -v[48:49]
	v_add_f64 v[22:23], v[28:29], v[20:21]
	v_add_f64 v[30:31], v[20:21], -v[28:29]
	v_add_f64 v[28:29], v[32:33], v[34:35]
	v_add_f64 v[20:21], v[32:33], -v[34:35]
	ds_write_b128 v25, v[12:15]
	ds_write_b128 v25, v[0:3] offset:48
	ds_write_b128 v25, v[4:7] offset:64
	ds_write_b128 v25, v[8:11] offset:80
	ds_write_b128 v25, v[16:19] offset:32
	ds_write_b128 v25, v[28:31] offset:16
	ds_write_b128 v25, v[20:23] offset:96
.LBB0_19:
	s_or_b32 exec_lo, exec_lo, s1
	s_waitcnt lgkmcnt(0)
	s_barrier
	buffer_gl0_inv
	ds_read_b128 v[12:15], v52
	ds_read_b128 v[20:23], v52 offset:1344
	ds_read_b128 v[16:19], v52 offset:2688
	v_cmp_gt_u32_e64 s0, 21, v24
	s_and_saveexec_b32 s1, s0
	s_cbranch_execz .LBB0_21
; %bb.20:
	ds_read_b128 v[0:3], v52 offset:1008
	ds_read_b128 v[4:7], v52 offset:2352
	ds_read_b128 v[8:11], v52 offset:3696
.LBB0_21:
	s_or_b32 exec_lo, exec_lo, s1
	v_and_b32_e32 v29, 0xff, v24
	v_mov_b32_e32 v36, 5
	s_mov_b32 s4, 0xe8584caa
	s_mov_b32 s5, 0x3febb67a
	;; [unrolled: 1-line block ×3, first 2 shown]
	v_mul_lo_u16 v25, v29, 37
	s_mov_b32 s6, s4
	v_lshrrev_b16 v30, 8, v25
	v_add_nc_u16 v25, v24, 63
	v_sub_nc_u16 v28, v24, v30
	v_lshrrev_b16 v31, 1, v28
	v_and_b32_e32 v28, 0xff, v25
	v_and_b32_e32 v31, 0x7f, v31
	v_mul_lo_u16 v32, v28, 37
	v_add_nc_u16 v30, v31, v30
	v_lshrrev_b16 v31, 8, v32
	v_lshrrev_b16 v55, 2, v30
	v_sub_nc_u16 v30, v25, v31
	v_mul_lo_u16 v32, v55, 7
	v_lshrrev_b16 v30, 1, v30
	v_sub_nc_u16 v56, v24, v32
	v_and_b32_e32 v30, 0x7f, v30
	v_lshlrev_b32_sdwa v37, v36, v56 dst_sel:DWORD dst_unused:UNUSED_PAD src0_sel:DWORD src1_sel:BYTE_0
	v_add_nc_u16 v30, v30, v31
	global_load_dwordx4 v[32:35], v37, s[8:9]
	v_lshrrev_b16 v30, 2, v30
	v_mul_lo_u16 v31, v30, 7
	v_sub_nc_u16 v31, v25, v31
	v_lshlrev_b32_sdwa v44, v36, v31 dst_sel:DWORD dst_unused:UNUSED_PAD src0_sel:DWORD src1_sel:BYTE_0
	s_clause 0x2
	global_load_dwordx4 v[36:39], v37, s[8:9] offset:16
	global_load_dwordx4 v[40:43], v44, s[8:9]
	global_load_dwordx4 v[44:47], v44, s[8:9] offset:16
	s_waitcnt vmcnt(0) lgkmcnt(0)
	s_barrier
	buffer_gl0_inv
	v_mul_f64 v[48:49], v[22:23], v[34:35]
	v_mul_f64 v[34:35], v[20:21], v[34:35]
	;; [unrolled: 1-line block ×5, first 2 shown]
	v_fma_f64 v[20:21], v[20:21], v[32:33], -v[48:49]
	v_fma_f64 v[22:23], v[22:23], v[32:33], v[34:35]
	v_mul_f64 v[32:33], v[10:11], v[46:47]
	v_mul_f64 v[34:35], v[4:5], v[42:43]
	;; [unrolled: 1-line block ×3, first 2 shown]
	v_fma_f64 v[16:17], v[16:17], v[36:37], -v[50:51]
	v_fma_f64 v[4:5], v[4:5], v[40:41], -v[53:54]
	v_fma_f64 v[18:19], v[18:19], v[36:37], v[38:39]
	v_fma_f64 v[8:9], v[8:9], v[44:45], -v[32:33]
	v_fma_f64 v[6:7], v[6:7], v[40:41], v[34:35]
	v_fma_f64 v[10:11], v[10:11], v[44:45], v[42:43]
	v_add_f64 v[40:41], v[12:13], v[20:21]
	v_add_f64 v[32:33], v[20:21], v[16:17]
	;; [unrolled: 1-line block ×4, first 2 shown]
	v_add_f64 v[42:43], v[22:23], -v[18:19]
	v_add_f64 v[22:23], v[14:15], v[22:23]
	v_add_f64 v[48:49], v[20:21], -v[16:17]
	v_add_f64 v[36:37], v[4:5], v[8:9]
	v_add_f64 v[46:47], v[2:3], v[6:7]
	;; [unrolled: 1-line block ×3, first 2 shown]
	v_add_f64 v[6:7], v[6:7], -v[10:11]
	v_add_f64 v[50:51], v[4:5], -v[8:9]
	v_fma_f64 v[12:13], v[32:33], -0.5, v[12:13]
	v_fma_f64 v[34:35], v[34:35], -0.5, v[14:15]
	v_add_f64 v[14:15], v[40:41], v[16:17]
	v_add_f64 v[16:17], v[22:23], v[18:19]
	v_fma_f64 v[36:37], v[36:37], -0.5, v[0:1]
	v_add_f64 v[0:1], v[44:45], v[8:9]
	v_fma_f64 v[38:39], v[38:39], -0.5, v[2:3]
	v_add_f64 v[2:3], v[46:47], v[10:11]
	v_fma_f64 v[18:19], v[42:43], s[4:5], v[12:13]
	v_fma_f64 v[32:33], v[42:43], s[6:7], v[12:13]
	;; [unrolled: 1-line block ×4, first 2 shown]
	v_mov_b32_e32 v12, 0x150
	v_mov_b32_e32 v13, 4
	v_fma_f64 v[4:5], v[6:7], s[4:5], v[36:37]
	v_fma_f64 v[8:9], v[6:7], s[6:7], v[36:37]
	;; [unrolled: 1-line block ×4, first 2 shown]
	v_mul_u32_u24_sdwa v22, v55, v12 dst_sel:DWORD dst_unused:UNUSED_PAD src0_sel:WORD_0 src1_sel:DWORD
	v_lshlrev_b32_sdwa v23, v13, v56 dst_sel:DWORD dst_unused:UNUSED_PAD src0_sel:DWORD src1_sel:BYTE_0
	v_add3_u32 v22, 0, v22, v23
	ds_write_b128 v22, v[14:17]
	ds_write_b128 v22, v[18:21] offset:112
	ds_write_b128 v22, v[32:35] offset:224
	s_and_saveexec_b32 s1, s0
	s_cbranch_execz .LBB0_23
; %bb.22:
	v_mul_u32_u24_sdwa v12, v30, v12 dst_sel:DWORD dst_unused:UNUSED_PAD src0_sel:WORD_0 src1_sel:DWORD
	v_lshlrev_b32_sdwa v13, v13, v31 dst_sel:DWORD dst_unused:UNUSED_PAD src0_sel:DWORD src1_sel:BYTE_0
	v_add3_u32 v12, 0, v12, v13
	ds_write_b128 v12, v[0:3]
	ds_write_b128 v12, v[4:7] offset:112
	ds_write_b128 v12, v[8:11] offset:224
.LBB0_23:
	s_or_b32 exec_lo, exec_lo, s1
	s_waitcnt lgkmcnt(0)
	s_barrier
	buffer_gl0_inv
	ds_read_b128 v[12:15], v52
	ds_read_b128 v[16:19], v52 offset:1344
	ds_read_b128 v[20:23], v52 offset:2688
	s_and_saveexec_b32 s1, s0
	s_cbranch_execz .LBB0_25
; %bb.24:
	ds_read_b128 v[0:3], v52 offset:1008
	ds_read_b128 v[4:7], v52 offset:2352
	;; [unrolled: 1-line block ×3, first 2 shown]
.LBB0_25:
	s_or_b32 exec_lo, exec_lo, s1
	v_mul_lo_u16 v29, 0x87, v29
	s_mov_b32 s6, s4
	v_lshrrev_b16 v29, 8, v29
	v_sub_nc_u16 v30, v24, v29
	v_lshrrev_b16 v30, 1, v30
	v_and_b32_e32 v30, 0x7f, v30
	v_add_nc_u16 v29, v30, v29
	v_mov_b32_e32 v30, 5
	v_lshrrev_b16 v29, 4, v29
	v_and_b32_e32 v41, 15, v29
	v_mul_lo_u16 v29, v41, 21
	v_sub_nc_u16 v42, v24, v29
	v_lshlrev_b32_sdwa v33, v30, v42 dst_sel:DWORD dst_unused:UNUSED_PAD src0_sel:DWORD src1_sel:BYTE_0
	s_clause 0x1
	global_load_dwordx4 v[29:32], v33, s[8:9] offset:224
	global_load_dwordx4 v[33:36], v33, s[8:9] offset:240
	s_waitcnt vmcnt(0) lgkmcnt(0)
	s_barrier
	buffer_gl0_inv
	v_mul_f64 v[37:38], v[18:19], v[31:32]
	v_mul_f64 v[39:40], v[22:23], v[35:36]
	;; [unrolled: 1-line block ×4, first 2 shown]
	v_fma_f64 v[16:17], v[16:17], v[29:30], -v[37:38]
	v_fma_f64 v[20:21], v[20:21], v[33:34], -v[39:40]
	v_fma_f64 v[18:19], v[18:19], v[29:30], v[31:32]
	v_fma_f64 v[22:23], v[22:23], v[33:34], v[35:36]
	v_add_f64 v[33:34], v[12:13], v[16:17]
	v_add_f64 v[29:30], v[16:17], v[20:21]
	v_add_f64 v[37:38], v[16:17], -v[20:21]
	v_add_f64 v[31:32], v[18:19], v[22:23]
	v_add_f64 v[35:36], v[18:19], -v[22:23]
	v_add_f64 v[18:19], v[14:15], v[18:19]
	v_fma_f64 v[29:30], v[29:30], -0.5, v[12:13]
	v_add_f64 v[12:13], v[33:34], v[20:21]
	v_fma_f64 v[31:32], v[31:32], -0.5, v[14:15]
	v_add_f64 v[14:15], v[18:19], v[22:23]
	v_fma_f64 v[16:17], v[35:36], s[4:5], v[29:30]
	v_fma_f64 v[20:21], v[35:36], s[6:7], v[29:30]
	;; [unrolled: 1-line block ×4, first 2 shown]
	v_mov_b32_e32 v29, 0x3f0
	v_mov_b32_e32 v30, 4
	v_mul_u32_u24_sdwa v29, v41, v29 dst_sel:DWORD dst_unused:UNUSED_PAD src0_sel:WORD_0 src1_sel:DWORD
	v_lshlrev_b32_sdwa v30, v30, v42 dst_sel:DWORD dst_unused:UNUSED_PAD src0_sel:DWORD src1_sel:BYTE_0
	v_add3_u32 v29, 0, v29, v30
	ds_write_b128 v29, v[12:15]
	ds_write_b128 v29, v[16:19] offset:336
	ds_write_b128 v29, v[20:23] offset:672
	s_and_saveexec_b32 s1, s0
	s_cbranch_execz .LBB0_27
; %bb.26:
	v_mul_lo_u16 v12, 0x87, v28
	v_lshrrev_b16 v12, 8, v12
	v_sub_nc_u16 v13, v25, v12
	v_lshrrev_b16 v13, 1, v13
	v_and_b32_e32 v13, 0x7f, v13
	v_add_nc_u16 v12, v13, v12
	v_lshrrev_b16 v12, 4, v12
	v_and_b32_e32 v12, 15, v12
	v_mul_lo_u16 v12, v12, 21
	v_sub_nc_u16 v12, v25, v12
	v_and_b32_e32 v25, 0xff, v12
	v_lshlrev_b32_e32 v16, 5, v25
	s_clause 0x1
	global_load_dwordx4 v[12:15], v16, s[8:9] offset:224
	global_load_dwordx4 v[16:19], v16, s[8:9] offset:240
	s_waitcnt vmcnt(1)
	v_mul_f64 v[20:21], v[4:5], v[14:15]
	s_waitcnt vmcnt(0)
	v_mul_f64 v[22:23], v[8:9], v[18:19]
	v_mul_f64 v[14:15], v[6:7], v[14:15]
	;; [unrolled: 1-line block ×3, first 2 shown]
	v_fma_f64 v[6:7], v[6:7], v[12:13], v[20:21]
	v_fma_f64 v[10:11], v[10:11], v[16:17], v[22:23]
	v_fma_f64 v[4:5], v[4:5], v[12:13], -v[14:15]
	v_fma_f64 v[8:9], v[8:9], v[16:17], -v[18:19]
	v_add_f64 v[18:19], v[2:3], v[6:7]
	v_add_f64 v[12:13], v[6:7], v[10:11]
	v_add_f64 v[20:21], v[6:7], -v[10:11]
	v_add_f64 v[14:15], v[4:5], v[8:9]
	v_add_f64 v[16:17], v[4:5], -v[8:9]
	v_add_f64 v[4:5], v[0:1], v[4:5]
	v_fma_f64 v[12:13], v[12:13], -0.5, v[2:3]
	v_add_f64 v[2:3], v[18:19], v[10:11]
	v_fma_f64 v[14:15], v[14:15], -0.5, v[0:1]
	v_add_f64 v[0:1], v[4:5], v[8:9]
	v_fma_f64 v[10:11], v[16:17], s[6:7], v[12:13]
	v_fma_f64 v[6:7], v[16:17], s[4:5], v[12:13]
	;; [unrolled: 1-line block ×4, first 2 shown]
	v_lshl_add_u32 v12, v25, 4, 0
	ds_write_b128 v12, v[0:3] offset:3024
	ds_write_b128 v12, v[8:11] offset:3360
	;; [unrolled: 1-line block ×3, first 2 shown]
.LBB0_27:
	s_or_b32 exec_lo, exec_lo, s1
	v_mul_u32_u24_e32 v0, 3, v24
	s_waitcnt lgkmcnt(0)
	s_barrier
	buffer_gl0_inv
	v_lshlrev_b32_e32 v8, 4, v0
	s_clause 0x2
	global_load_dwordx4 v[0:3], v8, s[8:9] offset:896
	global_load_dwordx4 v[4:7], v8, s[8:9] offset:912
	;; [unrolled: 1-line block ×3, first 2 shown]
	ds_read_b128 v[12:15], v52 offset:1008
	ds_read_b128 v[16:19], v52 offset:2016
	;; [unrolled: 1-line block ×3, first 2 shown]
	ds_read_b128 v[28:31], v52
	s_waitcnt vmcnt(0) lgkmcnt(0)
	s_barrier
	buffer_gl0_inv
	v_mul_f64 v[32:33], v[14:15], v[2:3]
	v_mul_f64 v[2:3], v[12:13], v[2:3]
	;; [unrolled: 1-line block ×6, first 2 shown]
	v_fma_f64 v[12:13], v[12:13], v[0:1], -v[32:33]
	v_fma_f64 v[0:1], v[14:15], v[0:1], v[2:3]
	v_fma_f64 v[2:3], v[16:17], v[4:5], -v[34:35]
	v_fma_f64 v[4:5], v[18:19], v[4:5], v[6:7]
	;; [unrolled: 2-line block ×3, first 2 shown]
	v_add_f64 v[10:11], v[28:29], -v[2:3]
	v_add_f64 v[14:15], v[30:31], -v[4:5]
	;; [unrolled: 1-line block ×4, first 2 shown]
	v_fma_f64 v[16:17], v[28:29], 2.0, -v[10:11]
	v_fma_f64 v[18:19], v[30:31], 2.0, -v[14:15]
	;; [unrolled: 1-line block ×4, first 2 shown]
	v_add_f64 v[0:1], v[10:11], -v[4:5]
	v_add_f64 v[2:3], v[14:15], v[2:3]
	v_add_f64 v[4:5], v[16:17], -v[6:7]
	v_add_f64 v[6:7], v[18:19], -v[8:9]
	v_fma_f64 v[8:9], v[10:11], 2.0, -v[0:1]
	v_fma_f64 v[10:11], v[14:15], 2.0, -v[2:3]
	;; [unrolled: 1-line block ×4, first 2 shown]
	ds_write_b128 v52, v[0:3] offset:3024
	ds_write_b128 v52, v[8:11] offset:1008
	;; [unrolled: 1-line block ×3, first 2 shown]
	ds_write_b128 v52, v[12:15]
	s_waitcnt lgkmcnt(0)
	s_barrier
	buffer_gl0_inv
	s_and_saveexec_b32 s0, vcc_lo
	s_cbranch_execz .LBB0_29
; %bb.28:
	v_mov_b32_e32 v25, 0
	v_add_co_u32 v26, vcc_lo, s2, v26
	v_lshl_add_u32 v12, v24, 4, 0
	v_add_co_ci_u32_e32 v27, vcc_lo, s3, v27, vcc_lo
	v_lshlrev_b64 v[0:1], 4, v[24:25]
	v_add_nc_u32_e32 v8, 63, v24
	v_mov_b32_e32 v9, v25
	v_add_nc_u32_e32 v18, 0x7e, v24
	v_mov_b32_e32 v19, v25
	v_add_nc_u32_e32 v24, 0xbd, v24
	v_add_co_u32 v16, vcc_lo, v26, v0
	v_add_co_ci_u32_e32 v17, vcc_lo, v27, v1, vcc_lo
	ds_read_b128 v[0:3], v12
	ds_read_b128 v[4:7], v12 offset:1008
	v_lshlrev_b64 v[20:21], 4, v[8:9]
	ds_read_b128 v[8:11], v12 offset:2016
	ds_read_b128 v[12:15], v12 offset:3024
	v_lshlrev_b64 v[18:19], 4, v[18:19]
	v_lshlrev_b64 v[22:23], 4, v[24:25]
	v_add_co_u32 v20, vcc_lo, v26, v20
	v_add_co_ci_u32_e32 v21, vcc_lo, v27, v21, vcc_lo
	v_add_co_u32 v18, vcc_lo, v26, v18
	v_add_co_ci_u32_e32 v19, vcc_lo, v27, v19, vcc_lo
	;; [unrolled: 2-line block ×3, first 2 shown]
	s_waitcnt lgkmcnt(3)
	global_store_dwordx4 v[16:17], v[0:3], off
	s_waitcnt lgkmcnt(2)
	global_store_dwordx4 v[20:21], v[4:7], off
	;; [unrolled: 2-line block ×4, first 2 shown]
.LBB0_29:
	s_endpgm
	.section	.rodata,"a",@progbits
	.p2align	6, 0x0
	.amdhsa_kernel fft_rtc_fwd_len252_factors_7_3_3_4_wgs_63_tpt_63_dp_ip_CI_unitstride_sbrr_C2R_dirReg
		.amdhsa_group_segment_fixed_size 0
		.amdhsa_private_segment_fixed_size 0
		.amdhsa_kernarg_size 88
		.amdhsa_user_sgpr_count 6
		.amdhsa_user_sgpr_private_segment_buffer 1
		.amdhsa_user_sgpr_dispatch_ptr 0
		.amdhsa_user_sgpr_queue_ptr 0
		.amdhsa_user_sgpr_kernarg_segment_ptr 1
		.amdhsa_user_sgpr_dispatch_id 0
		.amdhsa_user_sgpr_flat_scratch_init 0
		.amdhsa_user_sgpr_private_segment_size 0
		.amdhsa_wavefront_size32 1
		.amdhsa_uses_dynamic_stack 0
		.amdhsa_system_sgpr_private_segment_wavefront_offset 0
		.amdhsa_system_sgpr_workgroup_id_x 1
		.amdhsa_system_sgpr_workgroup_id_y 0
		.amdhsa_system_sgpr_workgroup_id_z 0
		.amdhsa_system_sgpr_workgroup_info 0
		.amdhsa_system_vgpr_workitem_id 0
		.amdhsa_next_free_vgpr 57
		.amdhsa_next_free_sgpr 21
		.amdhsa_reserve_vcc 1
		.amdhsa_reserve_flat_scratch 0
		.amdhsa_float_round_mode_32 0
		.amdhsa_float_round_mode_16_64 0
		.amdhsa_float_denorm_mode_32 3
		.amdhsa_float_denorm_mode_16_64 3
		.amdhsa_dx10_clamp 1
		.amdhsa_ieee_mode 1
		.amdhsa_fp16_overflow 0
		.amdhsa_workgroup_processor_mode 1
		.amdhsa_memory_ordered 1
		.amdhsa_forward_progress 0
		.amdhsa_shared_vgpr_count 0
		.amdhsa_exception_fp_ieee_invalid_op 0
		.amdhsa_exception_fp_denorm_src 0
		.amdhsa_exception_fp_ieee_div_zero 0
		.amdhsa_exception_fp_ieee_overflow 0
		.amdhsa_exception_fp_ieee_underflow 0
		.amdhsa_exception_fp_ieee_inexact 0
		.amdhsa_exception_int_div_zero 0
	.end_amdhsa_kernel
	.text
.Lfunc_end0:
	.size	fft_rtc_fwd_len252_factors_7_3_3_4_wgs_63_tpt_63_dp_ip_CI_unitstride_sbrr_C2R_dirReg, .Lfunc_end0-fft_rtc_fwd_len252_factors_7_3_3_4_wgs_63_tpt_63_dp_ip_CI_unitstride_sbrr_C2R_dirReg
                                        ; -- End function
	.section	.AMDGPU.csdata,"",@progbits
; Kernel info:
; codeLenInByte = 5080
; NumSgprs: 23
; NumVgprs: 57
; ScratchSize: 0
; MemoryBound: 0
; FloatMode: 240
; IeeeMode: 1
; LDSByteSize: 0 bytes/workgroup (compile time only)
; SGPRBlocks: 2
; VGPRBlocks: 7
; NumSGPRsForWavesPerEU: 23
; NumVGPRsForWavesPerEU: 57
; Occupancy: 16
; WaveLimiterHint : 1
; COMPUTE_PGM_RSRC2:SCRATCH_EN: 0
; COMPUTE_PGM_RSRC2:USER_SGPR: 6
; COMPUTE_PGM_RSRC2:TRAP_HANDLER: 0
; COMPUTE_PGM_RSRC2:TGID_X_EN: 1
; COMPUTE_PGM_RSRC2:TGID_Y_EN: 0
; COMPUTE_PGM_RSRC2:TGID_Z_EN: 0
; COMPUTE_PGM_RSRC2:TIDIG_COMP_CNT: 0
	.text
	.p2alignl 6, 3214868480
	.fill 48, 4, 3214868480
	.type	__hip_cuid_2ece2b586be1102f,@object ; @__hip_cuid_2ece2b586be1102f
	.section	.bss,"aw",@nobits
	.globl	__hip_cuid_2ece2b586be1102f
__hip_cuid_2ece2b586be1102f:
	.byte	0                               ; 0x0
	.size	__hip_cuid_2ece2b586be1102f, 1

	.ident	"AMD clang version 19.0.0git (https://github.com/RadeonOpenCompute/llvm-project roc-6.4.0 25133 c7fe45cf4b819c5991fe208aaa96edf142730f1d)"
	.section	".note.GNU-stack","",@progbits
	.addrsig
	.addrsig_sym __hip_cuid_2ece2b586be1102f
	.amdgpu_metadata
---
amdhsa.kernels:
  - .args:
      - .actual_access:  read_only
        .address_space:  global
        .offset:         0
        .size:           8
        .value_kind:     global_buffer
      - .offset:         8
        .size:           8
        .value_kind:     by_value
      - .actual_access:  read_only
        .address_space:  global
        .offset:         16
        .size:           8
        .value_kind:     global_buffer
      - .actual_access:  read_only
        .address_space:  global
        .offset:         24
        .size:           8
        .value_kind:     global_buffer
      - .offset:         32
        .size:           8
        .value_kind:     by_value
      - .actual_access:  read_only
        .address_space:  global
        .offset:         40
        .size:           8
        .value_kind:     global_buffer
      - .actual_access:  read_only
        .address_space:  global
        .offset:         48
        .size:           8
        .value_kind:     global_buffer
      - .offset:         56
        .size:           4
        .value_kind:     by_value
      - .actual_access:  read_only
        .address_space:  global
        .offset:         64
        .size:           8
        .value_kind:     global_buffer
      - .actual_access:  read_only
        .address_space:  global
        .offset:         72
        .size:           8
        .value_kind:     global_buffer
      - .address_space:  global
        .offset:         80
        .size:           8
        .value_kind:     global_buffer
    .group_segment_fixed_size: 0
    .kernarg_segment_align: 8
    .kernarg_segment_size: 88
    .language:       OpenCL C
    .language_version:
      - 2
      - 0
    .max_flat_workgroup_size: 63
    .name:           fft_rtc_fwd_len252_factors_7_3_3_4_wgs_63_tpt_63_dp_ip_CI_unitstride_sbrr_C2R_dirReg
    .private_segment_fixed_size: 0
    .sgpr_count:     23
    .sgpr_spill_count: 0
    .symbol:         fft_rtc_fwd_len252_factors_7_3_3_4_wgs_63_tpt_63_dp_ip_CI_unitstride_sbrr_C2R_dirReg.kd
    .uniform_work_group_size: 1
    .uses_dynamic_stack: false
    .vgpr_count:     57
    .vgpr_spill_count: 0
    .wavefront_size: 32
    .workgroup_processor_mode: 1
amdhsa.target:   amdgcn-amd-amdhsa--gfx1030
amdhsa.version:
  - 1
  - 2
...

	.end_amdgpu_metadata
